;; amdgpu-corpus repo=ROCm/rocFFT kind=compiled arch=gfx906 opt=O3
	.text
	.amdgcn_target "amdgcn-amd-amdhsa--gfx906"
	.amdhsa_code_object_version 6
	.protected	bluestein_single_fwd_len32_dim1_half_op_CI_CI ; -- Begin function bluestein_single_fwd_len32_dim1_half_op_CI_CI
	.globl	bluestein_single_fwd_len32_dim1_half_op_CI_CI
	.p2align	8
	.type	bluestein_single_fwd_len32_dim1_half_op_CI_CI,@function
bluestein_single_fwd_len32_dim1_half_op_CI_CI: ; @bluestein_single_fwd_len32_dim1_half_op_CI_CI
; %bb.0:
	s_load_dwordx4 s[0:3], s[4:5], 0x28
	v_lshrrev_b32_e32 v1, 4, v0
	v_lshl_or_b32 v8, s6, 3, v1
	v_mov_b32_e32 v9, 0
	s_waitcnt lgkmcnt(0)
	v_cmp_gt_u64_e32 vcc, s[0:1], v[8:9]
	s_and_saveexec_b64 s[0:1], vcc
	s_cbranch_execz .LBB0_23
; %bb.1:
	s_load_dwordx2 s[12:13], s[4:5], 0x0
	s_load_dwordx2 s[6:7], s[4:5], 0x38
	v_and_b32_e32 v22, 15, v0
	v_lshlrev_b32_e32 v9, 5, v1
	v_cmp_gt_u32_e32 vcc, 4, v22
	v_lshlrev_b32_e32 v25, 2, v22
	v_or_b32_e32 v26, v9, v22
	v_or_b32_e32 v23, 4, v22
	v_add_lshl_u32 v18, v9, v22, 2
	v_or_b32_e32 v24, 8, v22
	v_or_b32_e32 v21, 12, v22
	;; [unrolled: 1-line block ×5, first 2 shown]
	s_and_saveexec_b64 s[14:15], vcc
	s_cbranch_execz .LBB0_3
; %bb.2:
	s_load_dwordx2 s[0:1], s[4:5], 0x18
	v_mov_b32_e32 v10, s3
	s_waitcnt lgkmcnt(0)
	s_load_dwordx4 s[8:11], s[0:1], 0x0
	s_waitcnt lgkmcnt(0)
	v_mad_u64_u32 v[0:1], s[0:1], s10, v8, 0
	v_mad_u64_u32 v[2:3], s[0:1], s8, v22, 0
	;; [unrolled: 1-line block ×5, first 2 shown]
	v_mov_b32_e32 v1, v4
	v_lshlrev_b64 v[0:1], 2, v[0:1]
	v_mov_b32_e32 v3, v5
	v_add_co_u32_e64 v29, s[0:1], s2, v0
	v_mov_b32_e32 v0, v7
	v_addc_co_u32_e64 v30, s[0:1], v10, v1, s[0:1]
	v_mad_u64_u32 v[0:1], s[0:1], s9, v23, v[0:1]
	v_mad_u64_u32 v[4:5], s[0:1], s8, v24, 0
	v_lshlrev_b64 v[2:3], 2, v[2:3]
	v_mov_b32_e32 v7, v0
	v_add_co_u32_e64 v1, s[0:1], v29, v2
	v_mov_b32_e32 v0, v5
	v_addc_co_u32_e64 v2, s[0:1], v30, v3, s[0:1]
	v_mad_u64_u32 v[10:11], s[0:1], s9, v24, v[0:1]
	v_mad_u64_u32 v[11:12], s[0:1], s8, v21, 0
	;; [unrolled: 7-line block ×3, first 2 shown]
	v_lshlrev_b64 v[3:4], 2, v[4:5]
	v_lshlrev_b64 v[10:11], 2, v[11:12]
	v_add_co_u32_e64 v3, s[0:1], v29, v3
	v_mov_b32_e32 v0, v14
	v_addc_co_u32_e64 v4, s[0:1], v30, v4, s[0:1]
	v_mad_u64_u32 v[14:15], s[0:1], s9, v20, v[0:1]
	v_mad_u64_u32 v[15:16], s[0:1], s8, v19, 0
	global_load_dword v31, v[1:2], off
	global_load_dword v32, v25, s[12:13]
	v_add_co_u32_e64 v10, s[0:1], v29, v10
	v_mov_b32_e32 v0, v16
	v_addc_co_u32_e64 v11, s[0:1], v30, v11, s[0:1]
	v_mad_u64_u32 v[27:28], s[0:1], s9, v19, v[0:1]
	v_lshlrev_b64 v[12:13], 2, v[13:14]
	global_load_dword v14, v[6:7], off
	global_load_dword v28, v25, s[12:13] offset:16
	v_add_co_u32_e64 v5, s[0:1], v29, v12
	global_load_dword v7, v[3:4], off
	global_load_dword v12, v25, s[12:13] offset:32
	v_addc_co_u32_e64 v6, s[0:1], v30, v13, s[0:1]
	v_mad_u64_u32 v[3:4], s[0:1], s8, v17, 0
	v_mov_b32_e32 v16, v27
	s_lshl_b64 s[0:1], s[8:9], 6
	global_load_dword v27, v[10:11], off
	global_load_dword v33, v25, s[12:13] offset:48
	v_mov_b32_e32 v13, s1
	v_add_co_u32_e64 v0, s[0:1], s0, v1
	v_addc_co_u32_e64 v1, s[0:1], v2, v13, s[0:1]
	global_load_dword v13, v[0:1], off
	global_load_dword v34, v25, s[12:13] offset:64
	v_mov_b32_e32 v2, v4
	v_mad_u64_u32 v[10:11], s[0:1], s9, v17, v[2:3]
	v_lshlrev_b64 v[0:1], 2, v[15:16]
	global_load_dword v2, v[5:6], off
	global_load_dword v11, v25, s[12:13] offset:80
	v_add_co_u32_e64 v0, s[0:1], v29, v0
	v_addc_co_u32_e64 v1, s[0:1], v30, v1, s[0:1]
	v_mov_b32_e32 v4, v10
	global_load_dword v5, v[0:1], off
	global_load_dword v6, v25, s[12:13] offset:96
	v_lshlrev_b64 v[0:1], 2, v[3:4]
	v_add_co_u32_e64 v0, s[0:1], v29, v0
	v_addc_co_u32_e64 v1, s[0:1], v30, v1, s[0:1]
	global_load_dword v3, v[0:1], off
	global_load_dword v4, v25, s[12:13] offset:112
	s_waitcnt vmcnt(15)
	v_lshrrev_b32_e32 v0, 16, v31
	s_waitcnt vmcnt(14)
	v_mul_f16_sdwa v1, v32, v0 dst_sel:DWORD dst_unused:UNUSED_PAD src0_sel:WORD_1 src1_sel:DWORD
	v_mul_f16_sdwa v10, v32, v31 dst_sel:DWORD dst_unused:UNUSED_PAD src0_sel:WORD_1 src1_sel:DWORD
	v_fma_f16 v1, v32, v31, v1
	v_fma_f16 v0, v32, v0, -v10
	v_pack_b32_f16 v0, v1, v0
	v_lshlrev_b32_e32 v1, 2, v26
	ds_write_b32 v1, v0
	s_waitcnt vmcnt(13)
	v_lshrrev_b32_e32 v0, 16, v14
	s_waitcnt vmcnt(12)
	v_mul_f16_sdwa v1, v28, v0 dst_sel:DWORD dst_unused:UNUSED_PAD src0_sel:WORD_1 src1_sel:DWORD
	v_mul_f16_sdwa v10, v28, v14 dst_sel:DWORD dst_unused:UNUSED_PAD src0_sel:WORD_1 src1_sel:DWORD
	v_fma_f16 v1, v28, v14, v1
	v_fma_f16 v0, v28, v0, -v10
	v_pack_b32_f16 v0, v1, v0
	s_waitcnt vmcnt(11)
	v_lshrrev_b32_e32 v1, 16, v7
	s_waitcnt vmcnt(10)
	v_mul_f16_sdwa v10, v12, v1 dst_sel:DWORD dst_unused:UNUSED_PAD src0_sel:WORD_1 src1_sel:DWORD
	v_fma_f16 v10, v12, v7, v10
	v_mul_f16_sdwa v7, v12, v7 dst_sel:DWORD dst_unused:UNUSED_PAD src0_sel:WORD_1 src1_sel:DWORD
	v_fma_f16 v1, v12, v1, -v7
	v_pack_b32_f16 v1, v10, v1
	ds_write2_b32 v18, v0, v1 offset0:4 offset1:8
	s_waitcnt vmcnt(9)
	v_lshrrev_b32_e32 v0, 16, v27
	s_waitcnt vmcnt(8)
	v_mul_f16_sdwa v1, v33, v0 dst_sel:DWORD dst_unused:UNUSED_PAD src0_sel:WORD_1 src1_sel:DWORD
	v_mul_f16_sdwa v7, v33, v27 dst_sel:DWORD dst_unused:UNUSED_PAD src0_sel:WORD_1 src1_sel:DWORD
	v_fma_f16 v1, v33, v27, v1
	v_fma_f16 v0, v33, v0, -v7
	v_pack_b32_f16 v0, v1, v0
	s_waitcnt vmcnt(7)
	v_lshrrev_b32_e32 v1, 16, v13
	s_waitcnt vmcnt(6)
	v_mul_f16_sdwa v7, v34, v1 dst_sel:DWORD dst_unused:UNUSED_PAD src0_sel:WORD_1 src1_sel:DWORD
	v_mul_f16_sdwa v10, v34, v13 dst_sel:DWORD dst_unused:UNUSED_PAD src0_sel:WORD_1 src1_sel:DWORD
	v_fma_f16 v7, v34, v13, v7
	v_fma_f16 v1, v34, v1, -v10
	v_pack_b32_f16 v1, v7, v1
	ds_write2_b32 v18, v0, v1 offset0:12 offset1:16
	s_waitcnt vmcnt(5)
	v_lshrrev_b32_e32 v0, 16, v2
	s_waitcnt vmcnt(4)
	v_mul_f16_sdwa v1, v11, v0 dst_sel:DWORD dst_unused:UNUSED_PAD src0_sel:WORD_1 src1_sel:DWORD
	v_fma_f16 v1, v11, v2, v1
	v_mul_f16_sdwa v2, v11, v2 dst_sel:DWORD dst_unused:UNUSED_PAD src0_sel:WORD_1 src1_sel:DWORD
	v_fma_f16 v0, v11, v0, -v2
	v_pack_b32_f16 v0, v1, v0
	s_waitcnt vmcnt(3)
	v_lshrrev_b32_e32 v1, 16, v5
	s_waitcnt vmcnt(2)
	v_mul_f16_sdwa v2, v6, v1 dst_sel:DWORD dst_unused:UNUSED_PAD src0_sel:WORD_1 src1_sel:DWORD
	v_fma_f16 v2, v6, v5, v2
	v_mul_f16_sdwa v5, v6, v5 dst_sel:DWORD dst_unused:UNUSED_PAD src0_sel:WORD_1 src1_sel:DWORD
	v_fma_f16 v1, v6, v1, -v5
	v_pack_b32_f16 v1, v2, v1
	ds_write2_b32 v18, v0, v1 offset0:20 offset1:24
	s_waitcnt vmcnt(1)
	v_lshrrev_b32_e32 v0, 16, v3
	s_waitcnt vmcnt(0)
	v_mul_f16_sdwa v1, v4, v0 dst_sel:DWORD dst_unused:UNUSED_PAD src0_sel:WORD_1 src1_sel:DWORD
	v_mul_f16_sdwa v2, v4, v3 dst_sel:DWORD dst_unused:UNUSED_PAD src0_sel:WORD_1 src1_sel:DWORD
	v_fma_f16 v1, v4, v3, v1
	v_fma_f16 v0, v4, v0, -v2
	v_pack_b32_f16 v0, v1, v0
	ds_write_b32 v18, v0 offset:112
.LBB0_3:
	s_or_b64 exec, exec, s[14:15]
	s_waitcnt lgkmcnt(0)
	s_barrier
	s_waitcnt lgkmcnt(0)
                                        ; implicit-def: $vgpr0
                                        ; implicit-def: $vgpr4
                                        ; implicit-def: $vgpr2
                                        ; implicit-def: $vgpr6
	s_and_saveexec_b64 s[0:1], vcc
	s_cbranch_execz .LBB0_5
; %bb.4:
	v_lshlrev_b32_e32 v6, 2, v26
	ds_read2_b32 v[0:1], v6 offset1:4
	ds_read2_b32 v[2:3], v6 offset0:8 offset1:12
	ds_read2_b32 v[4:5], v6 offset0:16 offset1:20
	;; [unrolled: 1-line block ×3, first 2 shown]
.LBB0_5:
	s_or_b64 exec, exec, s[0:1]
	s_waitcnt lgkmcnt(1)
	v_pk_add_f16 v4, v0, v4 neg_lo:[0,1] neg_hi:[0,1]
	s_waitcnt lgkmcnt(0)
	v_pk_add_f16 v6, v2, v6 neg_lo:[0,1] neg_hi:[0,1]
	v_lshrrev_b32_e32 v10, 16, v4
	v_pk_add_f16 v5, v1, v5 neg_lo:[0,1] neg_hi:[0,1]
	v_pk_add_f16 v7, v3, v7 neg_lo:[0,1] neg_hi:[0,1]
	v_add_f16_e32 v27, v6, v10
	v_sub_f16_sdwa v13, v4, v6 dst_sel:DWORD dst_unused:UNUSED_PAD src0_sel:DWORD src1_sel:WORD_1
	v_fma_f16 v12, v10, 2.0, -v27
	v_sub_f16_sdwa v16, v5, v7 dst_sel:DWORD dst_unused:UNUSED_PAD src0_sel:DWORD src1_sel:WORD_1
	v_lshrrev_b32_e32 v10, 16, v5
	v_pk_fma_f16 v0, v0, 2.0, v4 op_sel_hi:[1,0,1] neg_lo:[0,0,1] neg_hi:[0,0,1]
	v_pk_fma_f16 v2, v2, 2.0, v6 op_sel_hi:[1,0,1] neg_lo:[0,0,1] neg_hi:[0,0,1]
	v_pk_fma_f16 v1, v1, 2.0, v5 op_sel_hi:[1,0,1] neg_lo:[0,0,1] neg_hi:[0,0,1]
	v_pk_fma_f16 v3, v3, 2.0, v7 op_sel_hi:[1,0,1] neg_lo:[0,0,1] neg_hi:[0,0,1]
	v_fma_f16 v11, v4, 2.0, -v13
	v_add_f16_e32 v30, v7, v10
	v_fma_f16 v14, v5, 2.0, -v16
	v_pk_add_f16 v2, v0, v2 neg_lo:[0,1] neg_hi:[0,1]
	v_pk_add_f16 v3, v1, v3 neg_lo:[0,1] neg_hi:[0,1]
	s_mov_b32 s0, 0xb9a8
	v_fma_f16 v10, v10, 2.0, -v30
	v_pk_fma_f16 v4, v0, 2.0, v2 op_sel_hi:[1,0,1] neg_lo:[0,0,1] neg_hi:[0,0,1]
	v_pk_fma_f16 v0, v1, 2.0, v3 op_sel_hi:[1,0,1] neg_lo:[0,0,1] neg_hi:[0,0,1]
	v_fma_f16 v1, v14, s0, v11
	s_load_dwordx2 s[2:3], s[4:5], 0x8
	v_fma_f16 v5, v10, s0, v12
	v_fma_f16 v10, v10, s0, v1
	s_movk_i32 s1, 0x39a8
	v_lshrrev_b32_e32 v1, 16, v2
	v_fma_f16 v28, v14, s1, v5
	v_fma_f16 v14, v11, 2.0, -v10
	v_sub_f16_sdwa v11, v2, v3 dst_sel:DWORD dst_unused:UNUSED_PAD src0_sel:DWORD src1_sel:WORD_1
	v_add_f16_e32 v29, v3, v1
	v_fma_f16 v15, v2, 2.0, -v11
	v_fma_f16 v32, v1, 2.0, -v29
	v_fma_f16 v1, v16, s1, v13
	v_fma_f16 v2, v30, s1, v27
	v_pk_add_f16 v0, v4, v0 neg_lo:[0,1] neg_hi:[0,1]
	v_fma_f16 v31, v12, 2.0, -v28
	v_fma_f16 v12, v30, s0, v1
	v_fma_f16 v30, v16, s1, v2
	v_pk_fma_f16 v4, v4, 2.0, v0 op_sel_hi:[1,0,1] neg_lo:[0,0,1] neg_hi:[0,0,1]
	v_fma_f16 v16, v13, 2.0, -v12
	v_fma_f16 v33, v27, 2.0, -v30
	v_lshlrev_b32_e32 v27, 2, v9
	s_waitcnt lgkmcnt(0)
	s_barrier
	s_and_saveexec_b64 s[0:1], vcc
	s_cbranch_execz .LBB0_7
; %bb.6:
	s_mov_b32 s8, 0x5040100
	v_lshl_or_b32 v9, v22, 5, v27
	v_perm_b32 v7, v33, v16, s8
	v_perm_b32 v6, v32, v15, s8
	;; [unrolled: 1-line block ×6, first 2 shown]
	ds_write_b128 v9, v[4:7]
	ds_write_b128 v9, v[0:3] offset:16
.LBB0_7:
	s_or_b64 exec, exec, s[0:1]
	v_cmp_gt_u32_e64 s[0:1], 8, v22
	s_waitcnt lgkmcnt(0)
	s_barrier
	s_and_saveexec_b64 s[8:9], s[0:1]
	s_cbranch_execz .LBB0_9
; %bb.8:
	v_lshlrev_b32_e32 v1, 2, v26
	ds_read2_b32 v[13:14], v1 offset1:8
	ds_read2_b32 v[15:16], v1 offset0:16 offset1:24
	s_waitcnt lgkmcnt(1)
	v_lshrrev_b32_e32 v31, 16, v14
	s_waitcnt lgkmcnt(0)
	v_lshrrev_b32_e32 v32, 16, v15
	v_lshrrev_b32_e32 v33, 16, v16
	v_mov_b32_e32 v4, v13
.LBB0_9:
	s_or_b64 exec, exec, s[8:9]
	v_and_b32_e32 v1, 7, v22
	v_mad_u64_u32 v[1:2], s[2:3], v1, 12, s[2:3]
	v_lshrrev_b32_e32 v5, 16, v4
	global_load_dwordx3 v[1:3], v[1:2], off
	s_waitcnt vmcnt(0)
	v_mul_f16_sdwa v6, v31, v1 dst_sel:DWORD dst_unused:UNUSED_PAD src0_sel:DWORD src1_sel:WORD_1
	v_mul_f16_sdwa v7, v14, v1 dst_sel:DWORD dst_unused:UNUSED_PAD src0_sel:DWORD src1_sel:WORD_1
	;; [unrolled: 1-line block ×6, first 2 shown]
	v_fma_f16 v6, v14, v1, -v6
	v_fma_f16 v7, v31, v1, v7
	v_fma_f16 v9, v15, v2, -v9
	v_fma_f16 v13, v32, v2, v13
	;; [unrolled: 2-line block ×3, first 2 shown]
	v_sub_f16_e32 v9, v4, v9
	v_sub_f16_e32 v31, v5, v13
	;; [unrolled: 1-line block ×4, first 2 shown]
	v_fma_f16 v16, v4, 2.0, -v9
	v_fma_f16 v32, v5, 2.0, -v31
	;; [unrolled: 1-line block ×4, first 2 shown]
	v_sub_f16_e32 v5, v9, v14
	v_add_f16_e32 v13, v31, v13
	v_sub_f16_e32 v4, v16, v4
	v_sub_f16_e32 v15, v32, v6
	v_fma_f16 v7, v9, 2.0, -v5
	v_fma_f16 v6, v16, 2.0, -v4
	;; [unrolled: 1-line block ×4, first 2 shown]
	s_and_saveexec_b64 s[2:3], s[0:1]
	s_cbranch_execz .LBB0_11
; %bb.10:
	s_mov_b32 s8, 0x5040100
	v_lshlrev_b32_e32 v9, 2, v26
	v_perm_b32 v31, v16, v6, s8
	v_perm_b32 v32, v14, v7, s8
	ds_write2_b32 v9, v31, v32 offset1:8
	v_perm_b32 v31, v15, v4, s8
	v_perm_b32 v32, v13, v5, s8
	ds_write2_b32 v9, v31, v32 offset0:16 offset1:24
.LBB0_11:
	s_or_b64 exec, exec, s[2:3]
	s_waitcnt lgkmcnt(0)
	s_barrier
	s_and_saveexec_b64 s[2:3], vcc
	s_cbranch_execz .LBB0_13
; %bb.12:
	global_load_dword v9, v25, s[12:13] offset:128
	s_add_u32 s8, s12, 0x80
	s_addc_u32 s9, s13, 0
	global_load_dword v37, v25, s[8:9] offset:16
	global_load_dword v38, v25, s[8:9] offset:32
	;; [unrolled: 1-line block ×7, first 2 shown]
	v_lshlrev_b32_e32 v31, 2, v26
	ds_read_b32 v32, v31
	s_waitcnt lgkmcnt(0)
	v_lshrrev_b32_e32 v33, 16, v32
	s_waitcnt vmcnt(7)
	v_mul_f16_sdwa v34, v33, v9 dst_sel:DWORD dst_unused:UNUSED_PAD src0_sel:DWORD src1_sel:WORD_1
	v_mul_f16_sdwa v35, v32, v9 dst_sel:DWORD dst_unused:UNUSED_PAD src0_sel:DWORD src1_sel:WORD_1
	v_fma_f16 v32, v32, v9, -v34
	v_fma_f16 v9, v33, v9, v35
	v_pack_b32_f16 v9, v32, v9
	ds_write_b32 v31, v9
	ds_read2_b32 v[31:32], v18 offset0:4 offset1:8
	ds_read2_b32 v[33:34], v18 offset0:12 offset1:16
	;; [unrolled: 1-line block ×3, first 2 shown]
	ds_read_b32 v9, v18 offset:112
	s_waitcnt lgkmcnt(3)
	v_lshrrev_b32_e32 v44, 16, v31
	s_waitcnt vmcnt(6)
	v_mul_f16_sdwa v45, v31, v37 dst_sel:DWORD dst_unused:UNUSED_PAD src0_sel:DWORD src1_sel:WORD_1
	v_lshrrev_b32_e32 v46, 16, v32
	s_waitcnt vmcnt(5)
	v_mul_f16_sdwa v47, v32, v38 dst_sel:DWORD dst_unused:UNUSED_PAD src0_sel:DWORD src1_sel:WORD_1
	s_waitcnt lgkmcnt(2)
	v_lshrrev_b32_e32 v48, 16, v33
	s_waitcnt vmcnt(4)
	v_mul_f16_sdwa v49, v33, v39 dst_sel:DWORD dst_unused:UNUSED_PAD src0_sel:DWORD src1_sel:WORD_1
	v_lshrrev_b32_e32 v50, 16, v34
	s_waitcnt vmcnt(3)
	v_mul_f16_sdwa v51, v34, v40 dst_sel:DWORD dst_unused:UNUSED_PAD src0_sel:DWORD src1_sel:WORD_1
	;; [unrolled: 7-line block ×3, first 2 shown]
	s_waitcnt lgkmcnt(0)
	v_lshrrev_b32_e32 v56, 16, v9
	v_mul_f16_sdwa v58, v44, v37 dst_sel:DWORD dst_unused:UNUSED_PAD src0_sel:DWORD src1_sel:WORD_1
	v_fma_f16 v44, v44, v37, v45
	v_mul_f16_sdwa v45, v46, v38 dst_sel:DWORD dst_unused:UNUSED_PAD src0_sel:DWORD src1_sel:WORD_1
	s_waitcnt vmcnt(0)
	v_mul_f16_sdwa v57, v9, v43 dst_sel:DWORD dst_unused:UNUSED_PAD src0_sel:DWORD src1_sel:WORD_1
	v_fma_f16 v46, v46, v38, v47
	v_mul_f16_sdwa v47, v48, v39 dst_sel:DWORD dst_unused:UNUSED_PAD src0_sel:DWORD src1_sel:WORD_1
	v_fma_f16 v48, v48, v39, v49
	;; [unrolled: 2-line block ×5, first 2 shown]
	v_mul_f16_sdwa v55, v56, v43 dst_sel:DWORD dst_unused:UNUSED_PAD src0_sel:DWORD src1_sel:WORD_1
	v_fma_f16 v31, v31, v37, -v58
	v_fma_f16 v32, v32, v38, -v45
	v_fma_f16 v56, v56, v43, v57
	v_fma_f16 v33, v33, v39, -v47
	v_fma_f16 v34, v34, v40, -v49
	v_fma_f16 v35, v35, v41, -v51
	v_fma_f16 v36, v36, v42, -v53
	v_fma_f16 v9, v9, v43, -v55
	v_pack_b32_f16 v31, v31, v44
	v_pack_b32_f16 v32, v32, v46
	;; [unrolled: 1-line block ×7, first 2 shown]
	ds_write2_b32 v18, v31, v32 offset0:4 offset1:8
	ds_write2_b32 v18, v33, v34 offset0:12 offset1:16
	ds_write2_b32 v18, v35, v36 offset0:20 offset1:24
	ds_write_b32 v18, v9 offset:112
.LBB0_13:
	s_or_b64 exec, exec, s[2:3]
	s_waitcnt lgkmcnt(0)
	s_barrier
	s_and_saveexec_b64 s[2:3], vcc
	s_cbranch_execz .LBB0_15
; %bb.14:
	v_lshlrev_b32_e32 v0, 2, v26
	ds_read2_b32 v[6:7], v0 offset1:4
	ds_read2_b32 v[4:5], v0 offset0:8 offset1:12
	ds_read2_b32 v[9:10], v0 offset0:16 offset1:20
	;; [unrolled: 1-line block ×3, first 2 shown]
	s_waitcnt lgkmcnt(3)
	v_lshrrev_b32_e32 v16, 16, v6
	v_lshrrev_b32_e32 v14, 16, v7
	s_waitcnt lgkmcnt(2)
	v_lshrrev_b32_e32 v15, 16, v4
	v_lshrrev_b32_e32 v13, 16, v5
	s_waitcnt lgkmcnt(1)
	v_lshrrev_b32_e32 v28, 16, v10
	s_waitcnt lgkmcnt(0)
	v_lshrrev_b32_e32 v29, 16, v11
	v_lshrrev_b32_e32 v30, 16, v12
	v_mov_b32_e32 v0, v9
.LBB0_15:
	s_or_b64 exec, exec, s[2:3]
	v_sub_f16_e32 v9, v6, v0
	v_sub_f16_sdwa v0, v16, v0 dst_sel:DWORD dst_unused:UNUSED_PAD src0_sel:DWORD src1_sel:WORD_1
	v_sub_f16_e32 v11, v4, v11
	v_sub_f16_e32 v29, v15, v29
	;; [unrolled: 1-line block ×6, first 2 shown]
	v_fma_f16 v6, v6, 2.0, -v9
	v_fma_f16 v16, v16, 2.0, -v0
	;; [unrolled: 1-line block ×8, first 2 shown]
	v_sub_f16_e32 v31, v6, v4
	v_sub_f16_e32 v32, v16, v15
	v_add_f16_e32 v33, v29, v9
	v_sub_f16_e32 v11, v0, v11
	v_sub_f16_e32 v29, v7, v5
	;; [unrolled: 1-line block ×3, first 2 shown]
	v_fma_f16 v4, v6, 2.0, -v31
	v_fma_f16 v6, v16, 2.0, -v32
	;; [unrolled: 1-line block ×5, first 2 shown]
	v_add_f16_e32 v7, v30, v10
	v_sub_f16_e32 v30, v28, v12
	v_fma_f16 v9, v9, 2.0, -v33
	v_fma_f16 v10, v10, 2.0, -v7
	;; [unrolled: 1-line block ×3, first 2 shown]
	v_sub_f16_e32 v13, v6, v5
	s_mov_b32 s2, 0xb9a8
	v_sub_f16_e32 v12, v4, v0
	v_fma_f16 v0, v6, 2.0, -v13
	v_fma_f16 v5, v10, s2, v9
	v_fma_f16 v6, v14, s2, v16
	s_movk_i32 s3, 0x39a8
	v_fma_f16 v14, v14, s3, v5
	v_fma_f16 v15, v10, s2, v6
	v_fma_f16 v5, v9, 2.0, -v14
	v_fma_f16 v9, v16, 2.0, -v15
	v_add_f16_e32 v16, v34, v31
	v_sub_f16_e32 v28, v32, v29
	v_fma_f16 v6, v31, 2.0, -v16
	v_fma_f16 v29, v7, s3, v33
	v_fma_f16 v31, v30, s3, v11
	;; [unrolled: 1-line block ×4, first 2 shown]
	v_fma_f16 v4, v4, 2.0, -v12
	v_fma_f16 v10, v32, 2.0, -v28
	;; [unrolled: 1-line block ×4, first 2 shown]
	s_barrier
	s_and_saveexec_b64 s[2:3], vcc
	s_cbranch_execz .LBB0_17
; %bb.16:
	s_mov_b32 s8, 0x5040100
	v_lshl_or_b32 v35, v22, 5, v27
	v_perm_b32 v34, v11, v7, s8
	v_perm_b32 v33, v10, v6, s8
	;; [unrolled: 1-line block ×8, first 2 shown]
	ds_write_b128 v35, v[31:34]
	ds_write_b128 v35, v[27:30] offset:16
.LBB0_17:
	s_or_b64 exec, exec, s[2:3]
	s_waitcnt lgkmcnt(0)
	s_barrier
	s_and_saveexec_b64 s[2:3], s[0:1]
	s_cbranch_execz .LBB0_19
; %bb.18:
	v_lshlrev_b32_e32 v0, 2, v26
	ds_read2_b32 v[4:5], v0 offset1:8
	ds_read2_b32 v[6:7], v0 offset0:16 offset1:24
	s_waitcnt lgkmcnt(1)
	v_lshrrev_b32_e32 v0, 16, v4
	v_lshrrev_b32_e32 v9, 16, v5
	s_waitcnt lgkmcnt(0)
	v_lshrrev_b32_e32 v10, 16, v6
	v_lshrrev_b32_e32 v11, 16, v7
.LBB0_19:
	s_or_b64 exec, exec, s[2:3]
	s_and_saveexec_b64 s[2:3], s[0:1]
	s_cbranch_execz .LBB0_21
; %bb.20:
	v_mul_f16_sdwa v12, v2, v10 dst_sel:DWORD dst_unused:UNUSED_PAD src0_sel:WORD_1 src1_sel:DWORD
	v_fma_f16 v12, v2, v6, v12
	v_mul_f16_sdwa v6, v2, v6 dst_sel:DWORD dst_unused:UNUSED_PAD src0_sel:WORD_1 src1_sel:DWORD
	v_mul_f16_sdwa v13, v1, v5 dst_sel:DWORD dst_unused:UNUSED_PAD src0_sel:WORD_1 src1_sel:DWORD
	v_fma_f16 v2, v2, v10, -v6
	v_mul_f16_sdwa v6, v1, v9 dst_sel:DWORD dst_unused:UNUSED_PAD src0_sel:WORD_1 src1_sel:DWORD
	v_fma_f16 v13, v1, v9, -v13
	v_mul_f16_sdwa v14, v3, v7 dst_sel:DWORD dst_unused:UNUSED_PAD src0_sel:WORD_1 src1_sel:DWORD
	v_fma_f16 v1, v1, v5, v6
	v_mul_f16_sdwa v5, v3, v11 dst_sel:DWORD dst_unused:UNUSED_PAD src0_sel:WORD_1 src1_sel:DWORD
	v_fma_f16 v14, v3, v11, -v14
	v_fma_f16 v3, v3, v7, v5
	v_sub_f16_e32 v2, v0, v2
	v_sub_f16_e32 v3, v1, v3
	;; [unrolled: 1-line block ×5, first 2 shown]
	v_fma_f16 v6, v2, 2.0, -v5
	v_fma_f16 v4, v4, 2.0, -v12
	;; [unrolled: 1-line block ×5, first 2 shown]
	v_add_f16_e32 v15, v12, v14
	v_sub_f16_e32 v1, v4, v1
	v_sub_f16_e32 v2, v0, v2
	v_fma_f16 v16, v12, 2.0, -v15
	v_fma_f16 v3, v4, 2.0, -v1
	;; [unrolled: 1-line block ×3, first 2 shown]
	v_lshlrev_b32_e32 v4, 2, v26
	v_pack_b32_f16 v0, v3, v0
	v_pack_b32_f16 v3, v16, v6
	ds_write2_b32 v4, v0, v3 offset1:8
	v_pack_b32_f16 v0, v1, v2
	v_pack_b32_f16 v1, v15, v5
	ds_write2_b32 v4, v0, v1 offset0:16 offset1:24
.LBB0_21:
	s_or_b64 exec, exec, s[2:3]
	s_waitcnt lgkmcnt(0)
	s_barrier
	s_and_b64 exec, exec, vcc
	s_cbranch_execz .LBB0_23
; %bb.22:
	global_load_dword v27, v25, s[12:13]
	global_load_dword v28, v25, s[12:13] offset:16
	global_load_dword v29, v25, s[12:13] offset:32
	v_lshlrev_b32_e32 v4, 2, v26
	ds_read2_b32 v[0:1], v18 offset0:4 offset1:8
	ds_read2_b32 v[2:3], v18 offset0:12 offset1:16
	ds_read_b32 v30, v4
	global_load_dword v31, v25, s[12:13] offset:48
	global_load_dword v32, v25, s[12:13] offset:64
	;; [unrolled: 1-line block ×5, first 2 shown]
	s_load_dwordx2 s[0:1], s[4:5], 0x20
	v_mov_b32_e32 v26, s7
	s_waitcnt lgkmcnt(0)
	v_lshrrev_b32_e32 v25, 16, v0
	v_lshrrev_b32_e32 v37, 16, v30
	s_movk_i32 s4, 0x2800
	s_load_dwordx4 s[0:3], s[0:1], 0x0
	v_lshrrev_b32_e32 v36, 16, v1
	s_waitcnt lgkmcnt(0)
	v_mad_u64_u32 v[4:5], s[8:9], s2, v8, 0
	v_mad_u64_u32 v[6:7], s[8:9], s0, v22, 0
	;; [unrolled: 1-line block ×8, first 2 shown]
	v_mov_b32_e32 v5, v13
	v_lshlrev_b64 v[4:5], 2, v[4:5]
	v_mov_b32_e32 v10, v14
	v_mov_b32_e32 v12, v15
	v_lshlrev_b64 v[6:7], 2, v[6:7]
	v_lshlrev_b64 v[8:9], 2, v[9:10]
	;; [unrolled: 1-line block ×3, first 2 shown]
	v_add_co_u32_e32 v12, vcc, s6, v4
	v_addc_co_u32_e32 v13, vcc, v26, v5, vcc
	v_add_co_u32_e32 v4, vcc, v12, v6
	v_addc_co_u32_e32 v5, vcc, v13, v7, vcc
	;; [unrolled: 2-line block ×3, first 2 shown]
	s_waitcnt vmcnt(7)
	v_mul_f16_sdwa v8, v37, v27 dst_sel:DWORD dst_unused:UNUSED_PAD src0_sel:DWORD src1_sel:WORD_1
	v_mul_f16_sdwa v9, v30, v27 dst_sel:DWORD dst_unused:UNUSED_PAD src0_sel:DWORD src1_sel:WORD_1
	s_waitcnt vmcnt(6)
	v_mul_f16_sdwa v14, v25, v28 dst_sel:DWORD dst_unused:UNUSED_PAD src0_sel:DWORD src1_sel:WORD_1
	v_mul_f16_sdwa v15, v0, v28 dst_sel:DWORD dst_unused:UNUSED_PAD src0_sel:DWORD src1_sel:WORD_1
	v_fma_f16 v8, v30, v27, v8
	v_fma_f16 v9, v27, v37, -v9
	v_fma_f16 v0, v0, v28, v14
	v_fma_f16 v14, v28, v25, -v15
	s_waitcnt vmcnt(5)
	v_mul_f16_sdwa v16, v36, v29 dst_sel:DWORD dst_unused:UNUSED_PAD src0_sel:DWORD src1_sel:WORD_1
	v_mul_f16_sdwa v22, v1, v29 dst_sel:DWORD dst_unused:UNUSED_PAD src0_sel:DWORD src1_sel:WORD_1
	v_mul_f16_e32 v8, 0x2800, v8
	v_mul_f16_sdwa v9, v9, s4 dst_sel:WORD_1 dst_unused:UNUSED_PAD src0_sel:DWORD src1_sel:DWORD
	v_mul_f16_e32 v0, 0x2800, v0
	v_mul_f16_sdwa v14, v14, s4 dst_sel:WORD_1 dst_unused:UNUSED_PAD src0_sel:DWORD src1_sel:DWORD
	v_fma_f16 v1, v1, v29, v16
	v_fma_f16 v15, v29, v36, -v22
	v_or_b32_e32 v8, v9, v8
	v_or_b32_e32 v0, v14, v0
	v_mul_f16_e32 v1, 0x2800, v1
	v_mul_f16_sdwa v15, v15, s4 dst_sel:WORD_1 dst_unused:UNUSED_PAD src0_sel:DWORD src1_sel:DWORD
	global_store_dword v[4:5], v8, off
	global_store_dword v[6:7], v0, off
	v_add_co_u32_e32 v0, vcc, v12, v10
	v_or_b32_e32 v9, v15, v1
	v_addc_co_u32_e32 v1, vcc, v13, v11, vcc
	global_store_dword v[0:1], v9, off
	v_mad_u64_u32 v[0:1], s[2:3], s0, v21, 0
	v_lshrrev_b32_e32 v8, 16, v2
	s_waitcnt vmcnt(7)
	v_mul_f16_sdwa v6, v8, v31 dst_sel:DWORD dst_unused:UNUSED_PAD src0_sel:DWORD src1_sel:WORD_1
	v_fma_f16 v6, v2, v31, v6
	v_mul_f16_e32 v9, 0x2800, v6
	v_mad_u64_u32 v[6:7], s[2:3], s1, v21, v[1:2]
	v_mul_f16_sdwa v1, v2, v31 dst_sel:DWORD dst_unused:UNUSED_PAD src0_sel:DWORD src1_sel:WORD_1
	v_fma_f16 v1, v31, v8, -v1
	v_mul_f16_sdwa v2, v1, s4 dst_sel:WORD_1 dst_unused:UNUSED_PAD src0_sel:DWORD src1_sel:DWORD
	v_mov_b32_e32 v1, v6
	v_lshlrev_b64 v[0:1], 2, v[0:1]
	v_or_b32_e32 v2, v2, v9
	v_add_co_u32_e32 v0, vcc, v12, v0
	v_addc_co_u32_e32 v1, vcc, v13, v1, vcc
	global_store_dword v[0:1], v2, off
	v_lshrrev_b32_e32 v0, 16, v3
	s_waitcnt vmcnt(7)
	v_mul_f16_sdwa v1, v0, v32 dst_sel:DWORD dst_unused:UNUSED_PAD src0_sel:DWORD src1_sel:WORD_1
	v_mul_f16_sdwa v2, v3, v32 dst_sel:DWORD dst_unused:UNUSED_PAD src0_sel:DWORD src1_sel:WORD_1
	v_fma_f16 v1, v3, v32, v1
	v_fma_f16 v0, v32, v0, -v2
	v_mul_f16_e32 v1, 0x2800, v1
	v_mul_f16_sdwa v0, v0, s4 dst_sel:WORD_1 dst_unused:UNUSED_PAD src0_sel:DWORD src1_sel:DWORD
	v_or_b32_e32 v6, v0, v1
	ds_read2_b32 v[0:1], v18 offset0:20 offset1:24
	s_lshl_b64 s[2:3], s[0:1], 6
	v_mov_b32_e32 v3, s3
	v_add_co_u32_e32 v2, vcc, s2, v4
	v_addc_co_u32_e32 v3, vcc, v5, v3, vcc
	global_store_dword v[2:3], v6, off
	v_mad_u64_u32 v[2:3], s[2:3], s0, v20, 0
	s_waitcnt lgkmcnt(0)
	v_lshrrev_b32_e32 v5, 16, v0
	s_waitcnt vmcnt(7)
	v_mul_f16_sdwa v4, v5, v33 dst_sel:DWORD dst_unused:UNUSED_PAD src0_sel:DWORD src1_sel:WORD_1
	v_fma_f16 v4, v0, v33, v4
	v_mul_f16_e32 v6, 0x2800, v4
	v_mad_u64_u32 v[3:4], s[2:3], s1, v20, v[3:4]
	v_mul_f16_sdwa v0, v0, v33 dst_sel:DWORD dst_unused:UNUSED_PAD src0_sel:DWORD src1_sel:WORD_1
	v_fma_f16 v0, v33, v5, -v0
	v_lshlrev_b64 v[2:3], 2, v[2:3]
	v_mul_f16_sdwa v0, v0, s4 dst_sel:WORD_1 dst_unused:UNUSED_PAD src0_sel:DWORD src1_sel:DWORD
	v_add_co_u32_e32 v2, vcc, v12, v2
	v_or_b32_e32 v0, v0, v6
	v_addc_co_u32_e32 v3, vcc, v13, v3, vcc
	global_store_dword v[2:3], v0, off
	v_mad_u64_u32 v[2:3], s[2:3], s0, v19, 0
	v_lshrrev_b32_e32 v5, 16, v1
	s_waitcnt vmcnt(7)
	v_mul_f16_sdwa v0, v5, v34 dst_sel:DWORD dst_unused:UNUSED_PAD src0_sel:DWORD src1_sel:WORD_1
	v_fma_f16 v0, v1, v34, v0
	v_mul_f16_e32 v6, 0x2800, v0
	v_mov_b32_e32 v0, v3
	v_mad_u64_u32 v[3:4], s[2:3], s1, v19, v[0:1]
	v_mul_f16_sdwa v0, v1, v34 dst_sel:DWORD dst_unused:UNUSED_PAD src0_sel:DWORD src1_sel:WORD_1
	v_fma_f16 v0, v34, v5, -v0
	v_mul_f16_sdwa v0, v0, s4 dst_sel:WORD_1 dst_unused:UNUSED_PAD src0_sel:DWORD src1_sel:DWORD
	v_or_b32_e32 v4, v0, v6
	v_lshlrev_b64 v[0:1], 2, v[2:3]
	ds_read_b32 v3, v18 offset:112
	v_add_co_u32_e32 v0, vcc, v12, v0
	v_addc_co_u32_e32 v1, vcc, v13, v1, vcc
	global_store_dword v[0:1], v4, off
	v_mad_u64_u32 v[0:1], s[2:3], s0, v17, 0
	s_waitcnt lgkmcnt(0)
	v_lshrrev_b32_e32 v4, 16, v3
	s_waitcnt vmcnt(7)
	v_mul_f16_sdwa v2, v4, v35 dst_sel:DWORD dst_unused:UNUSED_PAD src0_sel:DWORD src1_sel:WORD_1
	v_fma_f16 v2, v3, v35, v2
	v_mul_f16_e32 v5, 0x2800, v2
	v_mad_u64_u32 v[1:2], s[0:1], s1, v17, v[1:2]
	v_mul_f16_sdwa v2, v3, v35 dst_sel:DWORD dst_unused:UNUSED_PAD src0_sel:DWORD src1_sel:WORD_1
	v_fma_f16 v2, v35, v4, -v2
	v_lshlrev_b64 v[0:1], 2, v[0:1]
	v_mul_f16_sdwa v2, v2, s4 dst_sel:WORD_1 dst_unused:UNUSED_PAD src0_sel:DWORD src1_sel:DWORD
	v_add_co_u32_e32 v0, vcc, v12, v0
	v_or_b32_e32 v2, v2, v5
	v_addc_co_u32_e32 v1, vcc, v13, v1, vcc
	global_store_dword v[0:1], v2, off
.LBB0_23:
	s_endpgm
	.section	.rodata,"a",@progbits
	.p2align	6, 0x0
	.amdhsa_kernel bluestein_single_fwd_len32_dim1_half_op_CI_CI
		.amdhsa_group_segment_fixed_size 1024
		.amdhsa_private_segment_fixed_size 0
		.amdhsa_kernarg_size 104
		.amdhsa_user_sgpr_count 6
		.amdhsa_user_sgpr_private_segment_buffer 1
		.amdhsa_user_sgpr_dispatch_ptr 0
		.amdhsa_user_sgpr_queue_ptr 0
		.amdhsa_user_sgpr_kernarg_segment_ptr 1
		.amdhsa_user_sgpr_dispatch_id 0
		.amdhsa_user_sgpr_flat_scratch_init 0
		.amdhsa_user_sgpr_private_segment_size 0
		.amdhsa_uses_dynamic_stack 0
		.amdhsa_system_sgpr_private_segment_wavefront_offset 0
		.amdhsa_system_sgpr_workgroup_id_x 1
		.amdhsa_system_sgpr_workgroup_id_y 0
		.amdhsa_system_sgpr_workgroup_id_z 0
		.amdhsa_system_sgpr_workgroup_info 0
		.amdhsa_system_vgpr_workitem_id 0
		.amdhsa_next_free_vgpr 59
		.amdhsa_next_free_sgpr 16
		.amdhsa_reserve_vcc 1
		.amdhsa_reserve_flat_scratch 0
		.amdhsa_float_round_mode_32 0
		.amdhsa_float_round_mode_16_64 0
		.amdhsa_float_denorm_mode_32 3
		.amdhsa_float_denorm_mode_16_64 3
		.amdhsa_dx10_clamp 1
		.amdhsa_ieee_mode 1
		.amdhsa_fp16_overflow 0
		.amdhsa_exception_fp_ieee_invalid_op 0
		.amdhsa_exception_fp_denorm_src 0
		.amdhsa_exception_fp_ieee_div_zero 0
		.amdhsa_exception_fp_ieee_overflow 0
		.amdhsa_exception_fp_ieee_underflow 0
		.amdhsa_exception_fp_ieee_inexact 0
		.amdhsa_exception_int_div_zero 0
	.end_amdhsa_kernel
	.text
.Lfunc_end0:
	.size	bluestein_single_fwd_len32_dim1_half_op_CI_CI, .Lfunc_end0-bluestein_single_fwd_len32_dim1_half_op_CI_CI
                                        ; -- End function
	.section	.AMDGPU.csdata,"",@progbits
; Kernel info:
; codeLenInByte = 4464
; NumSgprs: 20
; NumVgprs: 59
; ScratchSize: 0
; MemoryBound: 0
; FloatMode: 240
; IeeeMode: 1
; LDSByteSize: 1024 bytes/workgroup (compile time only)
; SGPRBlocks: 2
; VGPRBlocks: 14
; NumSGPRsForWavesPerEU: 20
; NumVGPRsForWavesPerEU: 59
; Occupancy: 4
; WaveLimiterHint : 1
; COMPUTE_PGM_RSRC2:SCRATCH_EN: 0
; COMPUTE_PGM_RSRC2:USER_SGPR: 6
; COMPUTE_PGM_RSRC2:TRAP_HANDLER: 0
; COMPUTE_PGM_RSRC2:TGID_X_EN: 1
; COMPUTE_PGM_RSRC2:TGID_Y_EN: 0
; COMPUTE_PGM_RSRC2:TGID_Z_EN: 0
; COMPUTE_PGM_RSRC2:TIDIG_COMP_CNT: 0
	.type	__hip_cuid_63f505fbcb792bf3,@object ; @__hip_cuid_63f505fbcb792bf3
	.section	.bss,"aw",@nobits
	.globl	__hip_cuid_63f505fbcb792bf3
__hip_cuid_63f505fbcb792bf3:
	.byte	0                               ; 0x0
	.size	__hip_cuid_63f505fbcb792bf3, 1

	.ident	"AMD clang version 19.0.0git (https://github.com/RadeonOpenCompute/llvm-project roc-6.4.0 25133 c7fe45cf4b819c5991fe208aaa96edf142730f1d)"
	.section	".note.GNU-stack","",@progbits
	.addrsig
	.addrsig_sym __hip_cuid_63f505fbcb792bf3
	.amdgpu_metadata
---
amdhsa.kernels:
  - .args:
      - .actual_access:  read_only
        .address_space:  global
        .offset:         0
        .size:           8
        .value_kind:     global_buffer
      - .actual_access:  read_only
        .address_space:  global
        .offset:         8
        .size:           8
        .value_kind:     global_buffer
      - .actual_access:  read_only
        .address_space:  global
        .offset:         16
        .size:           8
        .value_kind:     global_buffer
      - .actual_access:  read_only
        .address_space:  global
        .offset:         24
        .size:           8
        .value_kind:     global_buffer
      - .actual_access:  read_only
        .address_space:  global
        .offset:         32
        .size:           8
        .value_kind:     global_buffer
      - .offset:         40
        .size:           8
        .value_kind:     by_value
      - .address_space:  global
        .offset:         48
        .size:           8
        .value_kind:     global_buffer
      - .address_space:  global
        .offset:         56
        .size:           8
        .value_kind:     global_buffer
      - .address_space:  global
        .offset:         64
        .size:           8
        .value_kind:     global_buffer
      - .address_space:  global
        .offset:         72
        .size:           8
        .value_kind:     global_buffer
      - .offset:         80
        .size:           4
        .value_kind:     by_value
      - .address_space:  global
        .offset:         88
        .size:           8
        .value_kind:     global_buffer
      - .address_space:  global
        .offset:         96
        .size:           8
        .value_kind:     global_buffer
    .group_segment_fixed_size: 1024
    .kernarg_segment_align: 8
    .kernarg_segment_size: 104
    .language:       OpenCL C
    .language_version:
      - 2
      - 0
    .max_flat_workgroup_size: 128
    .name:           bluestein_single_fwd_len32_dim1_half_op_CI_CI
    .private_segment_fixed_size: 0
    .sgpr_count:     20
    .sgpr_spill_count: 0
    .symbol:         bluestein_single_fwd_len32_dim1_half_op_CI_CI.kd
    .uniform_work_group_size: 1
    .uses_dynamic_stack: false
    .vgpr_count:     59
    .vgpr_spill_count: 0
    .wavefront_size: 64
amdhsa.target:   amdgcn-amd-amdhsa--gfx906
amdhsa.version:
  - 1
  - 2
...

	.end_amdgpu_metadata
